;; amdgpu-corpus repo=ROCm/rocFFT kind=compiled arch=gfx906 opt=O3
	.text
	.amdgcn_target "amdgcn-amd-amdhsa--gfx906"
	.amdhsa_code_object_version 6
	.protected	fft_rtc_fwd_len264_factors_8_3_11_wgs_231_tpt_33_dp_ip_CI_sbrr_dirReg ; -- Begin function fft_rtc_fwd_len264_factors_8_3_11_wgs_231_tpt_33_dp_ip_CI_sbrr_dirReg
	.globl	fft_rtc_fwd_len264_factors_8_3_11_wgs_231_tpt_33_dp_ip_CI_sbrr_dirReg
	.p2align	8
	.type	fft_rtc_fwd_len264_factors_8_3_11_wgs_231_tpt_33_dp_ip_CI_sbrr_dirReg,@function
fft_rtc_fwd_len264_factors_8_3_11_wgs_231_tpt_33_dp_ip_CI_sbrr_dirReg: ; @fft_rtc_fwd_len264_factors_8_3_11_wgs_231_tpt_33_dp_ip_CI_sbrr_dirReg
; %bb.0:
	s_load_dwordx2 s[14:15], s[4:5], 0x18
	s_load_dwordx4 s[8:11], s[4:5], 0x0
	s_load_dwordx2 s[12:13], s[4:5], 0x50
	v_mul_u32_u24_e32 v1, 0x7c2, v0
	v_lshrrev_b32_e32 v1, 16, v1
	v_mad_u64_u32 v[32:33], s[0:1], s6, 7, v[1:2]
	s_waitcnt lgkmcnt(0)
	s_load_dwordx2 s[2:3], s[14:15], 0x0
	v_mov_b32_e32 v3, 0
	v_cmp_lt_u64_e64 s[0:1], s[10:11], 2
	v_mov_b32_e32 v33, v3
	v_mov_b32_e32 v1, 0
	;; [unrolled: 1-line block ×3, first 2 shown]
	s_and_b64 vcc, exec, s[0:1]
	v_mov_b32_e32 v2, 0
	v_mov_b32_e32 v8, v33
	s_cbranch_vccnz .LBB0_8
; %bb.1:
	s_load_dwordx2 s[0:1], s[4:5], 0x10
	s_add_u32 s6, s14, 8
	s_addc_u32 s7, s15, 0
	v_mov_b32_e32 v1, 0
	v_mov_b32_e32 v5, v32
	s_waitcnt lgkmcnt(0)
	s_add_u32 s18, s0, 8
	s_mov_b64 s[16:17], 1
	v_mov_b32_e32 v2, 0
	s_addc_u32 s19, s1, 0
	v_mov_b32_e32 v6, v33
.LBB0_2:                                ; =>This Inner Loop Header: Depth=1
	s_load_dwordx2 s[20:21], s[18:19], 0x0
                                        ; implicit-def: $vgpr7_vgpr8
	s_waitcnt lgkmcnt(0)
	v_or_b32_e32 v4, s21, v6
	v_cmp_ne_u64_e32 vcc, 0, v[3:4]
	s_and_saveexec_b64 s[0:1], vcc
	s_xor_b64 s[22:23], exec, s[0:1]
	s_cbranch_execz .LBB0_4
; %bb.3:                                ;   in Loop: Header=BB0_2 Depth=1
	v_cvt_f32_u32_e32 v4, s20
	v_cvt_f32_u32_e32 v7, s21
	s_sub_u32 s0, 0, s20
	s_subb_u32 s1, 0, s21
	v_mac_f32_e32 v4, 0x4f800000, v7
	v_rcp_f32_e32 v4, v4
	v_mul_f32_e32 v4, 0x5f7ffffc, v4
	v_mul_f32_e32 v7, 0x2f800000, v4
	v_trunc_f32_e32 v7, v7
	v_mac_f32_e32 v4, 0xcf800000, v7
	v_cvt_u32_f32_e32 v7, v7
	v_cvt_u32_f32_e32 v4, v4
	v_mul_lo_u32 v8, s0, v7
	v_mul_hi_u32 v9, s0, v4
	v_mul_lo_u32 v11, s1, v4
	v_mul_lo_u32 v10, s0, v4
	v_add_u32_e32 v8, v9, v8
	v_add_u32_e32 v8, v8, v11
	v_mul_hi_u32 v9, v4, v10
	v_mul_lo_u32 v11, v4, v8
	v_mul_hi_u32 v13, v4, v8
	v_mul_hi_u32 v12, v7, v10
	v_mul_lo_u32 v10, v7, v10
	v_mul_hi_u32 v14, v7, v8
	v_add_co_u32_e32 v9, vcc, v9, v11
	v_addc_co_u32_e32 v11, vcc, 0, v13, vcc
	v_mul_lo_u32 v8, v7, v8
	v_add_co_u32_e32 v9, vcc, v9, v10
	v_addc_co_u32_e32 v9, vcc, v11, v12, vcc
	v_addc_co_u32_e32 v10, vcc, 0, v14, vcc
	v_add_co_u32_e32 v8, vcc, v9, v8
	v_addc_co_u32_e32 v9, vcc, 0, v10, vcc
	v_add_co_u32_e32 v4, vcc, v4, v8
	v_addc_co_u32_e32 v7, vcc, v7, v9, vcc
	v_mul_lo_u32 v8, s0, v7
	v_mul_hi_u32 v9, s0, v4
	v_mul_lo_u32 v10, s1, v4
	v_mul_lo_u32 v11, s0, v4
	v_add_u32_e32 v8, v9, v8
	v_add_u32_e32 v8, v8, v10
	v_mul_lo_u32 v12, v4, v8
	v_mul_hi_u32 v13, v4, v11
	v_mul_hi_u32 v14, v4, v8
	;; [unrolled: 1-line block ×3, first 2 shown]
	v_mul_lo_u32 v11, v7, v11
	v_mul_hi_u32 v9, v7, v8
	v_add_co_u32_e32 v12, vcc, v13, v12
	v_addc_co_u32_e32 v13, vcc, 0, v14, vcc
	v_mul_lo_u32 v8, v7, v8
	v_add_co_u32_e32 v11, vcc, v12, v11
	v_addc_co_u32_e32 v10, vcc, v13, v10, vcc
	v_addc_co_u32_e32 v9, vcc, 0, v9, vcc
	v_add_co_u32_e32 v8, vcc, v10, v8
	v_addc_co_u32_e32 v9, vcc, 0, v9, vcc
	v_add_co_u32_e32 v4, vcc, v4, v8
	v_addc_co_u32_e32 v9, vcc, v7, v9, vcc
	v_mad_u64_u32 v[7:8], s[0:1], v5, v9, 0
	v_mul_hi_u32 v10, v5, v4
	v_add_co_u32_e32 v11, vcc, v10, v7
	v_addc_co_u32_e32 v12, vcc, 0, v8, vcc
	v_mad_u64_u32 v[7:8], s[0:1], v6, v4, 0
	v_mad_u64_u32 v[9:10], s[0:1], v6, v9, 0
	v_add_co_u32_e32 v4, vcc, v11, v7
	v_addc_co_u32_e32 v4, vcc, v12, v8, vcc
	v_addc_co_u32_e32 v7, vcc, 0, v10, vcc
	v_add_co_u32_e32 v4, vcc, v4, v9
	v_addc_co_u32_e32 v9, vcc, 0, v7, vcc
	v_mul_lo_u32 v10, s21, v4
	v_mul_lo_u32 v11, s20, v9
	v_mad_u64_u32 v[7:8], s[0:1], s20, v4, 0
	v_add3_u32 v8, v8, v11, v10
	v_sub_u32_e32 v10, v6, v8
	v_mov_b32_e32 v11, s21
	v_sub_co_u32_e32 v7, vcc, v5, v7
	v_subb_co_u32_e64 v10, s[0:1], v10, v11, vcc
	v_subrev_co_u32_e64 v11, s[0:1], s20, v7
	v_subbrev_co_u32_e64 v10, s[0:1], 0, v10, s[0:1]
	v_cmp_le_u32_e64 s[0:1], s21, v10
	v_cndmask_b32_e64 v12, 0, -1, s[0:1]
	v_cmp_le_u32_e64 s[0:1], s20, v11
	v_cndmask_b32_e64 v11, 0, -1, s[0:1]
	v_cmp_eq_u32_e64 s[0:1], s21, v10
	v_cndmask_b32_e64 v10, v12, v11, s[0:1]
	v_add_co_u32_e64 v11, s[0:1], 2, v4
	v_addc_co_u32_e64 v12, s[0:1], 0, v9, s[0:1]
	v_add_co_u32_e64 v13, s[0:1], 1, v4
	v_addc_co_u32_e64 v14, s[0:1], 0, v9, s[0:1]
	v_subb_co_u32_e32 v8, vcc, v6, v8, vcc
	v_cmp_ne_u32_e64 s[0:1], 0, v10
	v_cmp_le_u32_e32 vcc, s21, v8
	v_cndmask_b32_e64 v10, v14, v12, s[0:1]
	v_cndmask_b32_e64 v12, 0, -1, vcc
	v_cmp_le_u32_e32 vcc, s20, v7
	v_cndmask_b32_e64 v7, 0, -1, vcc
	v_cmp_eq_u32_e32 vcc, s21, v8
	v_cndmask_b32_e32 v7, v12, v7, vcc
	v_cmp_ne_u32_e32 vcc, 0, v7
	v_cndmask_b32_e64 v7, v13, v11, s[0:1]
	v_cndmask_b32_e32 v8, v9, v10, vcc
	v_cndmask_b32_e32 v7, v4, v7, vcc
.LBB0_4:                                ;   in Loop: Header=BB0_2 Depth=1
	s_andn2_saveexec_b64 s[0:1], s[22:23]
	s_cbranch_execz .LBB0_6
; %bb.5:                                ;   in Loop: Header=BB0_2 Depth=1
	v_cvt_f32_u32_e32 v4, s20
	s_sub_i32 s22, 0, s20
	v_rcp_iflag_f32_e32 v4, v4
	v_mul_f32_e32 v4, 0x4f7ffffe, v4
	v_cvt_u32_f32_e32 v4, v4
	v_mul_lo_u32 v7, s22, v4
	v_mul_hi_u32 v7, v4, v7
	v_add_u32_e32 v4, v4, v7
	v_mul_hi_u32 v4, v5, v4
	v_mul_lo_u32 v7, v4, s20
	v_add_u32_e32 v8, 1, v4
	v_sub_u32_e32 v7, v5, v7
	v_subrev_u32_e32 v9, s20, v7
	v_cmp_le_u32_e32 vcc, s20, v7
	v_cndmask_b32_e32 v7, v7, v9, vcc
	v_cndmask_b32_e32 v4, v4, v8, vcc
	v_add_u32_e32 v8, 1, v4
	v_cmp_le_u32_e32 vcc, s20, v7
	v_cndmask_b32_e32 v7, v4, v8, vcc
	v_mov_b32_e32 v8, v3
.LBB0_6:                                ;   in Loop: Header=BB0_2 Depth=1
	s_or_b64 exec, exec, s[0:1]
	v_mul_lo_u32 v4, v8, s20
	v_mul_lo_u32 v11, v7, s21
	v_mad_u64_u32 v[9:10], s[0:1], v7, s20, 0
	s_load_dwordx2 s[0:1], s[6:7], 0x0
	s_add_u32 s16, s16, 1
	v_add3_u32 v4, v10, v11, v4
	v_sub_co_u32_e32 v5, vcc, v5, v9
	v_subb_co_u32_e32 v4, vcc, v6, v4, vcc
	s_waitcnt lgkmcnt(0)
	v_mul_lo_u32 v4, s0, v4
	v_mul_lo_u32 v6, s1, v5
	v_mad_u64_u32 v[1:2], s[0:1], s0, v5, v[1:2]
	s_addc_u32 s17, s17, 0
	s_add_u32 s6, s6, 8
	v_add3_u32 v2, v6, v2, v4
	v_mov_b32_e32 v4, s10
	v_mov_b32_e32 v5, s11
	s_addc_u32 s7, s7, 0
	v_cmp_ge_u64_e32 vcc, s[16:17], v[4:5]
	s_add_u32 s18, s18, 8
	s_addc_u32 s19, s19, 0
	s_cbranch_vccnz .LBB0_8
; %bb.7:                                ;   in Loop: Header=BB0_2 Depth=1
	v_mov_b32_e32 v5, v7
	v_mov_b32_e32 v6, v8
	s_branch .LBB0_2
.LBB0_8:
	s_lshl_b64 s[0:1], s[10:11], 3
	s_add_u32 s0, s14, s0
	s_addc_u32 s1, s15, s1
	s_load_dwordx2 s[6:7], s[0:1], 0x0
	s_load_dwordx2 s[10:11], s[4:5], 0x20
                                        ; implicit-def: $vgpr36
	s_waitcnt lgkmcnt(0)
	v_mad_u64_u32 v[1:2], s[0:1], s6, v7, v[1:2]
	s_mov_b32 s0, 0x7c1f07d
	v_mul_lo_u32 v3, s6, v8
	v_mul_lo_u32 v4, s7, v7
	v_mul_hi_u32 v5, v0, s0
	v_cmp_gt_u64_e32 vcc, s[10:11], v[7:8]
	v_cmp_le_u64_e64 s[0:1], s[10:11], v[7:8]
	v_add3_u32 v2, v4, v2, v3
	v_mul_u32_u24_e32 v3, 33, v5
	v_sub_u32_e32 v98, v0, v3
	v_add_u32_e32 v37, 33, v98
	s_and_saveexec_b64 s[4:5], s[0:1]
	s_xor_b64 s[0:1], exec, s[4:5]
; %bb.9:
	v_add_u32_e32 v37, 33, v98
	v_add_u32_e32 v36, 0x42, v98
; %bb.10:
	s_or_saveexec_b64 s[4:5], s[0:1]
	v_lshlrev_b64 v[44:45], 4, v[1:2]
                                        ; implicit-def: $vgpr2_vgpr3
                                        ; implicit-def: $vgpr6_vgpr7
                                        ; implicit-def: $vgpr30_vgpr31
                                        ; implicit-def: $vgpr26_vgpr27
                                        ; implicit-def: $vgpr18_vgpr19
                                        ; implicit-def: $vgpr22_vgpr23
                                        ; implicit-def: $vgpr10_vgpr11
                                        ; implicit-def: $vgpr14_vgpr15
	s_xor_b64 exec, exec, s[4:5]
	s_cbranch_execz .LBB0_12
; %bb.11:
	v_mad_u64_u32 v[0:1], s[0:1], s2, v98, 0
	v_mov_b32_e32 v4, s13
	v_add_u32_e32 v36, 0x42, v98
	v_mad_u64_u32 v[1:2], s[0:1], s3, v98, v[1:2]
	v_mad_u64_u32 v[2:3], s[0:1], s2, v37, 0
	v_add_co_u32_e64 v8, s[0:1], s12, v44
	v_addc_co_u32_e64 v9, s[0:1], v4, v45, s[0:1]
	v_mad_u64_u32 v[3:4], s[0:1], s3, v37, v[3:4]
	v_mad_u64_u32 v[4:5], s[0:1], s2, v36, 0
	v_lshlrev_b64 v[0:1], 4, v[0:1]
	v_add_co_u32_e64 v33, s[0:1], v8, v0
	v_addc_co_u32_e64 v34, s[0:1], v9, v1, s[0:1]
	v_lshlrev_b64 v[0:1], 4, v[2:3]
	v_mov_b32_e32 v2, v5
	v_mad_u64_u32 v[2:3], s[0:1], s3, v36, v[2:3]
	v_add_u32_e32 v3, 0x63, v98
	v_mad_u64_u32 v[6:7], s[0:1], s2, v3, 0
	v_add_co_u32_e64 v38, s[0:1], v8, v0
	v_mov_b32_e32 v5, v2
	v_mov_b32_e32 v2, v7
	v_addc_co_u32_e64 v39, s[0:1], v9, v1, s[0:1]
	v_lshlrev_b64 v[0:1], 4, v[4:5]
	v_mad_u64_u32 v[2:3], s[0:1], s3, v3, v[2:3]
	v_add_u32_e32 v5, 0x84, v98
	v_mad_u64_u32 v[3:4], s[0:1], s2, v5, 0
	v_add_co_u32_e64 v40, s[0:1], v8, v0
	v_mov_b32_e32 v7, v2
	v_mov_b32_e32 v2, v4
	v_addc_co_u32_e64 v41, s[0:1], v9, v1, s[0:1]
	v_lshlrev_b64 v[0:1], 4, v[6:7]
	v_mad_u64_u32 v[4:5], s[0:1], s3, v5, v[2:3]
	v_add_u32_e32 v7, 0xa5, v98
	v_mad_u64_u32 v[5:6], s[0:1], s2, v7, 0
	v_add_co_u32_e64 v42, s[0:1], v8, v0
	v_mov_b32_e32 v2, v6
	v_addc_co_u32_e64 v43, s[0:1], v9, v1, s[0:1]
	v_lshlrev_b64 v[0:1], 4, v[3:4]
	v_mad_u64_u32 v[2:3], s[0:1], s3, v7, v[2:3]
	v_add_u32_e32 v7, 0xc6, v98
	v_mad_u64_u32 v[3:4], s[0:1], s2, v7, 0
	v_add_co_u32_e64 v46, s[0:1], v8, v0
	v_mov_b32_e32 v6, v2
	v_mov_b32_e32 v2, v4
	v_addc_co_u32_e64 v47, s[0:1], v9, v1, s[0:1]
	v_lshlrev_b64 v[0:1], 4, v[5:6]
	v_mad_u64_u32 v[4:5], s[0:1], s3, v7, v[2:3]
	v_add_u32_e32 v7, 0xe7, v98
	v_mad_u64_u32 v[5:6], s[0:1], s2, v7, 0
	v_add_co_u32_e64 v48, s[0:1], v8, v0
	v_mov_b32_e32 v2, v6
	v_addc_co_u32_e64 v49, s[0:1], v9, v1, s[0:1]
	v_lshlrev_b64 v[0:1], 4, v[3:4]
	v_mad_u64_u32 v[2:3], s[0:1], s3, v7, v[2:3]
	v_add_co_u32_e64 v50, s[0:1], v8, v0
	v_mov_b32_e32 v6, v2
	v_addc_co_u32_e64 v51, s[0:1], v9, v1, s[0:1]
	v_lshlrev_b64 v[0:1], 4, v[5:6]
	v_add_co_u32_e64 v52, s[0:1], v8, v0
	v_addc_co_u32_e64 v53, s[0:1], v9, v1, s[0:1]
	global_load_dwordx4 v[12:15], v[33:34], off
	global_load_dwordx4 v[0:3], v[38:39], off
	;; [unrolled: 1-line block ×8, first 2 shown]
.LBB0_12:
	s_or_b64 exec, exec, s[4:5]
	s_waitcnt vmcnt(3)
	v_add_f64 v[28:29], v[12:13], -v[28:29]
	v_add_f64 v[30:31], v[14:15], -v[30:31]
	s_waitcnt vmcnt(1)
	v_add_f64 v[24:25], v[8:9], -v[24:25]
	v_add_f64 v[20:21], v[0:1], -v[20:21]
	;; [unrolled: 3-line block ×3, first 2 shown]
	v_add_f64 v[26:27], v[10:11], -v[26:27]
	v_add_f64 v[22:23], v[2:3], -v[22:23]
	v_fma_f64 v[12:13], v[12:13], 2.0, -v[28:29]
	v_fma_f64 v[14:15], v[14:15], 2.0, -v[30:31]
	;; [unrolled: 1-line block ×3, first 2 shown]
	v_add_f64 v[38:39], v[24:25], v[30:31]
	v_add_f64 v[24:25], v[20:21], -v[18:19]
	v_fma_f64 v[0:1], v[0:1], 2.0, -v[20:21]
	v_fma_f64 v[4:5], v[4:5], 2.0, -v[16:17]
	;; [unrolled: 1-line block ×5, first 2 shown]
	v_add_f64 v[33:34], v[28:29], -v[26:27]
	v_add_f64 v[26:27], v[16:17], v[22:23]
	v_fma_f64 v[16:17], v[20:21], 2.0, -v[24:25]
	v_add_f64 v[40:41], v[12:13], -v[8:9]
	v_add_f64 v[20:21], v[0:1], -v[4:5]
	v_add_f64 v[42:43], v[14:15], -v[10:11]
	v_fma_f64 v[30:31], v[30:31], 2.0, -v[38:39]
	v_add_f64 v[4:5], v[2:3], -v[6:7]
	v_fma_f64 v[28:29], v[28:29], 2.0, -v[33:34]
	v_fma_f64 v[18:19], v[22:23], 2.0, -v[26:27]
	s_mov_b32 s0, 0x667f3bcd
	v_fma_f64 v[6:7], v[12:13], 2.0, -v[40:41]
	v_fma_f64 v[0:1], v[0:1], 2.0, -v[20:21]
	;; [unrolled: 1-line block ×3, first 2 shown]
	s_mov_b32 s1, 0xbfe6a09e
	v_fma_f64 v[2:3], v[2:3], 2.0, -v[4:5]
	s_mov_b32 s5, 0x3fe6a09e
	s_mov_b32 s4, s0
	v_fma_f64 v[12:13], v[16:17], s[0:1], v[28:29]
	v_fma_f64 v[46:47], v[24:25], s[4:5], v[33:34]
	;; [unrolled: 1-line block ×3, first 2 shown]
	v_add_f64 v[8:9], v[6:7], -v[0:1]
	v_fma_f64 v[48:49], v[26:27], s[4:5], v[38:39]
	v_add_f64 v[10:11], v[22:23], -v[2:3]
	v_add_f64 v[4:5], v[40:41], -v[4:5]
	v_fma_f64 v[12:13], v[18:19], s[0:1], v[12:13]
	v_fma_f64 v[0:1], v[26:27], s[0:1], v[46:47]
	s_mov_b32 s0, 0x24924925
	v_mul_hi_u32 v26, v32, s0
	v_fma_f64 v[14:15], v[16:17], s[4:5], v[14:15]
	v_fma_f64 v[16:17], v[6:7], 2.0, -v[8:9]
	v_add_f64 v[6:7], v[20:21], v[42:43]
	v_fma_f64 v[2:3], v[24:25], s[4:5], v[48:49]
	v_fma_f64 v[18:19], v[22:23], 2.0, -v[10:11]
	v_sub_u32_e32 v22, v32, v26
	v_lshrrev_b32_e32 v20, 1, v22
	v_add_u32_e32 v20, v20, v26
	v_lshrrev_b32_e32 v20, 2, v20
	v_mul_lo_u32 v35, v20, 7
	v_fma_f64 v[20:21], v[28:29], 2.0, -v[12:13]
	v_fma_f64 v[22:23], v[30:31], 2.0, -v[14:15]
	;; [unrolled: 1-line block ×6, first 2 shown]
	v_sub_u32_e32 v32, v32, v35
	v_mul_u32_u24_e32 v32, 0x108, v32
	v_lshl_add_u32 v33, v32, 4, 0
	v_lshl_add_u32 v34, v98, 7, v33
	s_movk_i32 s0, 0xff90
	ds_write_b128 v34, v[16:19]
	ds_write_b128 v34, v[20:23] offset:16
	ds_write_b128 v34, v[24:27] offset:32
	;; [unrolled: 1-line block ×7, first 2 shown]
	v_lshl_add_u32 v41, v98, 4, v33
	v_mad_i32_i24 v40, v98, s0, v34
	v_lshl_add_u32 v12, v37, 4, v33
	s_waitcnt lgkmcnt(0)
	s_barrier
	ds_read_b128 v[8:11], v41
	ds_read_b128 v[16:19], v40 offset:1408
	ds_read_b128 v[20:23], v40 offset:2816
	;; [unrolled: 1-line block ×3, first 2 shown]
	ds_read_b128 v[12:15], v12
	ds_read_b128 v[28:31], v40 offset:3344
	v_cmp_gt_u32_e64 s[0:1], 22, v98
	v_lshlrev_b32_e32 v38, 4, v32
                                        ; implicit-def: $vgpr34_vgpr35
	s_and_saveexec_b64 s[4:5], s[0:1]
	s_cbranch_execz .LBB0_14
; %bb.13:
	v_lshlrev_b32_e32 v0, 4, v36
	v_add3_u32 v0, 0, v0, v38
	ds_read_b128 v[4:7], v0
	ds_read_b128 v[0:3], v40 offset:2464
	ds_read_b128 v[32:35], v40 offset:3872
.LBB0_14:
	s_or_b64 exec, exec, s[4:5]
	v_and_b32_e32 v42, 7, v98
	v_lshlrev_b32_e32 v39, 5, v42
	global_load_dwordx4 v[46:49], v39, s[8:9]
	global_load_dwordx4 v[50:53], v39, s[8:9] offset:16
	v_and_b32_e32 v43, 7, v37
	v_and_b32_e32 v39, 7, v36
	v_lshlrev_b32_e32 v58, 5, v43
	v_lshlrev_b32_e32 v70, 5, v39
	global_load_dwordx4 v[54:57], v58, s[8:9]
	v_lshrrev_b32_e32 v37, 3, v37
	global_load_dwordx4 v[58:61], v58, s[8:9] offset:16
	s_nop 0
	global_load_dwordx4 v[62:65], v70, s[8:9]
	global_load_dwordx4 v[66:69], v70, s[8:9] offset:16
	v_lshrrev_b32_e32 v70, 3, v98
	v_mul_lo_u32 v37, v37, 24
	v_mul_u32_u24_e32 v70, 24, v70
	v_or_b32_e32 v42, v70, v42
	v_lshlrev_b32_e32 v42, 4, v42
	v_add3_u32 v80, 0, v42, v38
	v_or_b32_e32 v37, v37, v43
	s_mov_b32 s4, 0xe8584caa
	s_mov_b32 s5, 0x3febb67a
	;; [unrolled: 1-line block ×4, first 2 shown]
	v_lshlrev_b32_e32 v37, 4, v37
	s_waitcnt vmcnt(0) lgkmcnt(0)
	s_barrier
	v_add3_u32 v37, 0, v37, v38
	v_mul_f64 v[42:43], v[18:19], v[48:49]
	v_mul_f64 v[48:49], v[16:17], v[48:49]
	;; [unrolled: 1-line block ×12, first 2 shown]
	v_fma_f64 v[16:17], v[16:17], v[46:47], -v[42:43]
	v_fma_f64 v[18:19], v[18:19], v[46:47], v[48:49]
	v_fma_f64 v[20:21], v[20:21], v[50:51], -v[70:71]
	v_fma_f64 v[22:23], v[22:23], v[50:51], v[52:53]
	;; [unrolled: 2-line block ×6, first 2 shown]
	v_add_f64 v[42:43], v[16:17], v[20:21]
	v_add_f64 v[46:47], v[18:19], v[22:23]
	;; [unrolled: 1-line block ×8, first 2 shown]
	v_add_f64 v[60:61], v[26:27], -v[30:31]
	v_add_f64 v[62:63], v[24:25], -v[28:29]
	v_add_f64 v[24:25], v[0:1], v[32:33]
	v_add_f64 v[26:27], v[2:3], v[34:35]
	v_add_f64 v[18:19], v[18:19], -v[22:23]
	v_add_f64 v[16:17], v[16:17], -v[20:21]
	v_add_f64 v[64:65], v[6:7], v[2:3]
	v_add_f64 v[66:67], v[4:5], v[0:1]
	v_add_f64 v[68:69], v[2:3], -v[34:35]
	v_add_f64 v[70:71], v[0:1], -v[32:33]
	v_fma_f64 v[42:43], v[42:43], -0.5, v[8:9]
	v_fma_f64 v[46:47], v[46:47], -0.5, v[10:11]
	v_add_f64 v[2:3], v[48:49], v[22:23]
	v_add_f64 v[0:1], v[50:51], v[20:21]
	v_fma_f64 v[20:21], v[52:53], -0.5, v[12:13]
	v_fma_f64 v[22:23], v[54:55], -0.5, v[14:15]
	v_add_f64 v[10:11], v[56:57], v[30:31]
	v_add_f64 v[8:9], v[58:59], v[28:29]
	;; [unrolled: 4-line block ×3, first 2 shown]
	v_fma_f64 v[4:5], v[18:19], s[4:5], v[42:43]
	v_fma_f64 v[12:13], v[18:19], s[6:7], v[42:43]
	;; [unrolled: 1-line block ×12, first 2 shown]
	ds_write_b128 v80, v[0:3]
	ds_write_b128 v80, v[4:7] offset:128
	ds_write_b128 v80, v[12:15] offset:256
	ds_write_b128 v37, v[8:11]
	ds_write_b128 v37, v[16:19] offset:128
	ds_write_b128 v37, v[20:23] offset:256
	s_and_saveexec_b64 s[4:5], s[0:1]
	s_cbranch_execz .LBB0_16
; %bb.15:
	v_lshrrev_b32_e32 v36, 3, v36
	v_mul_lo_u32 v36, v36, 24
	v_or_b32_e32 v36, v36, v39
	v_lshlrev_b32_e32 v36, 4, v36
	v_add3_u32 v36, 0, v36, v38
	ds_write_b128 v36, v[24:27]
	ds_write_b128 v36, v[32:35] offset:128
	ds_write_b128 v36, v[28:31] offset:256
.LBB0_16:
	s_or_b64 exec, exec, s[4:5]
	v_cmp_gt_u32_e64 s[0:1], 24, v98
	s_waitcnt lgkmcnt(0)
	s_barrier
	s_waitcnt lgkmcnt(0)
                                        ; implicit-def: $vgpr42_vgpr43
                                        ; implicit-def: $vgpr38_vgpr39
	s_and_saveexec_b64 s[4:5], s[0:1]
	s_cbranch_execnz .LBB0_19
; %bb.17:
	s_or_b64 exec, exec, s[4:5]
	s_and_b64 s[0:1], vcc, s[0:1]
	s_and_saveexec_b64 s[4:5], s[0:1]
	s_cbranch_execnz .LBB0_20
.LBB0_18:
	s_endpgm
.LBB0_19:
	ds_read_b128 v[0:3], v41
	ds_read_b128 v[4:7], v40 offset:384
	ds_read_b128 v[12:15], v40 offset:768
	;; [unrolled: 1-line block ×10, first 2 shown]
	s_or_b64 exec, exec, s[4:5]
	s_and_b64 s[0:1], vcc, s[0:1]
	s_and_saveexec_b64 s[4:5], s[0:1]
	s_cbranch_execz .LBB0_18
.LBB0_20:
	v_mul_u32_u24_e32 v46, 10, v98
	v_lshlrev_b32_e32 v74, 4, v46
	global_load_dwordx4 v[46:49], v74, s[8:9] offset:320
	global_load_dwordx4 v[50:53], v74, s[8:9] offset:336
	;; [unrolled: 1-line block ×10, first 2 shown]
	s_mov_b32 s0, 0x9bcd5057
	s_mov_b32 s1, 0xbfeeb42a
	;; [unrolled: 1-line block ×30, first 2 shown]
	s_waitcnt vmcnt(9) lgkmcnt(5)
	v_mul_f64 v[74:75], v[22:23], v[46:47]
	v_mul_f64 v[22:23], v[22:23], v[48:49]
	s_waitcnt vmcnt(8) lgkmcnt(4)
	v_mul_f64 v[76:77], v[26:27], v[50:51]
	s_waitcnt vmcnt(7)
	v_mul_f64 v[78:79], v[18:19], v[54:55]
	v_mul_f64 v[18:19], v[18:19], v[56:57]
	;; [unrolled: 1-line block ×3, first 2 shown]
	s_waitcnt vmcnt(3)
	v_mul_f64 v[84:85], v[14:15], v[66:67]
	s_waitcnt vmcnt(2)
	v_mul_f64 v[105:106], v[6:7], v[70:71]
	s_waitcnt vmcnt(1) lgkmcnt(0)
	v_mul_f64 v[107:108], v[42:43], v[90:91]
	v_mul_f64 v[80:81], v[34:35], v[58:59]
	;; [unrolled: 1-line block ×5, first 2 shown]
	s_waitcnt vmcnt(0)
	v_mul_f64 v[111:112], v[38:39], v[94:95]
	v_mul_f64 v[113:114], v[38:39], v[96:97]
	v_fma_f64 v[42:43], v[20:21], v[48:49], v[74:75]
	v_fma_f64 v[38:39], v[20:21], v[46:47], -v[22:23]
	v_fma_f64 v[34:35], v[24:25], v[52:53], v[76:77]
	v_fma_f64 v[48:49], v[16:17], v[56:57], v[78:79]
	v_fma_f64 v[46:47], v[16:17], v[54:55], -v[18:19]
	v_fma_f64 v[76:77], v[12:13], v[68:69], v[84:85]
	v_fma_f64 v[84:85], v[4:5], v[72:73], v[105:106]
	;; [unrolled: 1-line block ×3, first 2 shown]
	v_mul_f64 v[99:100], v[10:11], v[62:63]
	v_mul_f64 v[101:102], v[30:31], v[86:87]
	;; [unrolled: 1-line block ×4, first 2 shown]
	v_fma_f64 v[30:31], v[24:25], v[50:51], -v[26:27]
	v_fma_f64 v[26:27], v[32:33], v[60:61], v[80:81]
	v_fma_f64 v[80:81], v[4:5], v[70:71], -v[6:7]
	v_fma_f64 v[18:19], v[40:41], v[90:91], -v[109:110]
	v_fma_f64 v[22:23], v[36:37], v[96:97], v[111:112]
	v_add_f64 v[96:97], v[84:85], v[16:17]
	v_mul_f64 v[10:11], v[10:11], v[64:65]
	v_fma_f64 v[24:25], v[32:33], v[58:59], -v[82:83]
	v_fma_f64 v[74:75], v[12:13], v[66:67], -v[14:15]
	;; [unrolled: 1-line block ×3, first 2 shown]
	v_fma_f64 v[72:73], v[8:9], v[64:65], v[99:100]
	v_fma_f64 v[32:33], v[28:29], v[88:89], v[101:102]
	v_add_f64 v[70:71], v[80:81], -v[18:19]
	v_add_f64 v[94:95], v[76:77], v[22:23]
	v_add_f64 v[92:93], v[84:85], -v[16:17]
	v_mul_f64 v[4:5], v[96:97], s[0:1]
	v_fma_f64 v[68:69], v[8:9], v[62:63], -v[10:11]
	v_fma_f64 v[28:29], v[28:29], v[86:87], -v[103:104]
	v_add_f64 v[58:59], v[74:75], -v[20:21]
	v_add_f64 v[66:67], v[80:81], v[18:19]
	v_add_f64 v[88:89], v[76:77], -v[22:23]
	v_add_f64 v[90:91], v[72:73], v[32:33]
	v_mul_f64 v[6:7], v[92:93], s[10:11]
	v_mul_f64 v[8:9], v[94:95], s[6:7]
	v_fma_f64 v[111:112], v[70:71], s[4:5], v[4:5]
	v_add_f64 v[60:61], v[74:75], v[20:21]
	v_add_f64 v[54:55], v[68:69], -v[28:29]
	v_add_f64 v[82:83], v[72:73], -v[32:33]
	v_add_f64 v[86:87], v[48:49], v[26:27]
	v_mul_f64 v[10:11], v[88:89], s[18:19]
	v_mul_f64 v[12:13], v[90:91], s[14:15]
	v_fma_f64 v[113:114], v[66:67], s[0:1], v[6:7]
	v_fma_f64 v[4:5], v[70:71], s[10:11], v[4:5]
	;; [unrolled: 1-line block ×3, first 2 shown]
	v_fma_f64 v[6:7], v[66:67], s[0:1], -v[6:7]
	v_add_f64 v[111:112], v[2:3], v[111:112]
	v_add_f64 v[56:57], v[68:69], v[28:29]
	v_add_f64 v[40:41], v[46:47], -v[24:25]
	v_add_f64 v[78:79], v[48:49], -v[26:27]
	v_add_f64 v[64:65], v[42:43], v[34:35]
	v_mul_f64 v[14:15], v[82:83], s[16:17]
	v_mul_f64 v[99:100], v[86:87], s[20:21]
	v_fma_f64 v[119:120], v[60:61], s[6:7], v[10:11]
	v_fma_f64 v[8:9], v[58:59], s[18:19], v[8:9]
	v_add_f64 v[113:114], v[0:1], v[113:114]
	v_fma_f64 v[10:11], v[60:61], s[6:7], -v[10:11]
	v_fma_f64 v[121:122], v[54:55], s[24:25], v[12:13]
	v_add_f64 v[4:5], v[2:3], v[4:5]
	v_add_f64 v[6:7], v[0:1], v[6:7]
	;; [unrolled: 1-line block ×4, first 2 shown]
	v_add_f64 v[36:37], v[38:39], -v[30:31]
	v_add_f64 v[62:63], v[42:43], -v[34:35]
	v_mul_f64 v[101:102], v[78:79], s[34:35]
	v_mul_f64 v[103:104], v[64:65], s[26:27]
	;; [unrolled: 1-line block ×3, first 2 shown]
	v_fma_f64 v[123:124], v[56:57], s[14:15], v[14:15]
	v_fma_f64 v[12:13], v[54:55], s[16:17], v[12:13]
	v_add_f64 v[113:114], v[119:120], v[113:114]
	v_fma_f64 v[117:118], v[40:41], s[22:23], v[99:100]
	v_fma_f64 v[14:15], v[56:57], s[14:15], -v[14:15]
	v_add_f64 v[4:5], v[8:9], v[4:5]
	v_add_f64 v[6:7], v[10:11], v[6:7]
	;; [unrolled: 1-line block ×4, first 2 shown]
	v_mul_f64 v[105:106], v[62:63], s[28:29]
	v_mul_f64 v[109:110], v[94:95], s[26:27]
	;; [unrolled: 1-line block ×3, first 2 shown]
	v_fma_f64 v[119:120], v[52:53], s[20:21], v[101:102]
	v_fma_f64 v[8:9], v[36:37], s[30:31], v[103:104]
	v_add_f64 v[111:112], v[123:124], v[113:114]
	v_fma_f64 v[99:100], v[40:41], s[34:35], v[99:100]
	v_fma_f64 v[113:114], v[70:71], s[24:25], v[107:108]
	v_fma_f64 v[101:102], v[52:53], s[20:21], -v[101:102]
	v_add_f64 v[4:5], v[12:13], v[4:5]
	v_add_f64 v[6:7], v[14:15], v[6:7]
	;; [unrolled: 1-line block ×3, first 2 shown]
	v_fma_f64 v[12:13], v[50:51], s[26:27], v[105:106]
	v_add_f64 v[14:15], v[119:120], v[111:112]
	v_mul_f64 v[111:112], v[90:91], s[6:7]
	v_fma_f64 v[117:118], v[58:59], s[28:29], v[109:110]
	v_add_f64 v[113:114], v[2:3], v[113:114]
	v_add_f64 v[99:100], v[99:100], v[4:5]
	;; [unrolled: 1-line block ×3, first 2 shown]
	v_fma_f64 v[119:120], v[66:67], s[14:15], v[115:116]
	v_mul_f64 v[121:122], v[88:89], s[30:31]
	v_add_f64 v[6:7], v[8:9], v[10:11]
	v_fma_f64 v[8:9], v[36:37], s[28:29], v[103:104]
	v_add_f64 v[4:5], v[12:13], v[14:15]
	v_add_f64 v[12:13], v[117:118], v[113:114]
	v_fma_f64 v[14:15], v[54:55], s[18:19], v[111:112]
	v_mul_f64 v[103:104], v[86:87], s[0:1]
	v_add_f64 v[113:114], v[0:1], v[119:120]
	v_fma_f64 v[117:118], v[60:61], s[26:27], v[121:122]
	v_mul_f64 v[119:120], v[82:83], s[8:9]
	v_fma_f64 v[105:106], v[50:51], s[26:27], -v[105:106]
	v_add_f64 v[10:11], v[8:9], v[99:100]
	v_fma_f64 v[8:9], v[70:71], s[16:17], v[107:108]
	v_fma_f64 v[99:100], v[66:67], s[14:15], -v[115:116]
	v_add_f64 v[12:13], v[14:15], v[12:13]
	v_fma_f64 v[14:15], v[40:41], s[4:5], v[103:104]
	v_add_f64 v[107:108], v[117:118], v[113:114]
	v_fma_f64 v[113:114], v[56:57], s[6:7], v[119:120]
	v_mul_f64 v[115:116], v[78:79], s[10:11]
	v_fma_f64 v[109:110], v[58:59], s[30:31], v[109:110]
	v_add_f64 v[117:118], v[2:3], v[8:9]
	v_add_f64 v[8:9], v[105:106], v[101:102]
	v_fma_f64 v[101:102], v[60:61], s[26:27], -v[121:122]
	v_add_f64 v[99:100], v[0:1], v[99:100]
	v_add_f64 v[12:13], v[14:15], v[12:13]
	;; [unrolled: 1-line block ×3, first 2 shown]
	v_fma_f64 v[105:106], v[52:53], s[0:1], v[115:116]
	v_mul_f64 v[107:108], v[64:65], s[20:21]
	v_add_f64 v[109:110], v[109:110], v[117:118]
	v_fma_f64 v[111:112], v[54:55], s[8:9], v[111:112]
	v_mul_f64 v[117:118], v[96:97], s[26:27]
	v_add_f64 v[99:100], v[101:102], v[99:100]
	v_fma_f64 v[101:102], v[56:57], s[6:7], -v[119:120]
	v_mul_f64 v[119:120], v[92:93], s[28:29]
	v_mul_f64 v[113:114], v[62:63], s[34:35]
	v_add_f64 v[105:106], v[105:106], v[14:15]
	v_fma_f64 v[14:15], v[36:37], s[22:23], v[107:108]
	v_add_f64 v[109:110], v[111:112], v[109:110]
	v_fma_f64 v[103:104], v[40:41], s[10:11], v[103:104]
	v_fma_f64 v[121:122], v[70:71], s[30:31], v[117:118]
	v_mul_f64 v[123:124], v[94:95], s[0:1]
	v_add_f64 v[99:100], v[101:102], v[99:100]
	v_fma_f64 v[101:102], v[52:53], s[0:1], -v[115:116]
	v_fma_f64 v[115:116], v[66:67], s[26:27], v[119:120]
	v_mul_f64 v[125:126], v[88:89], s[4:5]
	v_fma_f64 v[111:112], v[50:51], s[20:21], v[113:114]
	v_add_f64 v[14:15], v[14:15], v[12:13]
	v_add_f64 v[103:104], v[103:104], v[109:110]
	;; [unrolled: 1-line block ×3, first 2 shown]
	v_fma_f64 v[109:110], v[58:59], s[10:11], v[123:124]
	v_mul_f64 v[121:122], v[90:91], s[20:21]
	v_add_f64 v[99:100], v[101:102], v[99:100]
	v_add_f64 v[101:102], v[0:1], v[115:116]
	v_fma_f64 v[115:116], v[60:61], s[0:1], v[125:126]
	v_mul_f64 v[127:128], v[82:83], s[34:35]
	v_fma_f64 v[107:108], v[36:37], s[34:35], v[107:108]
	v_fma_f64 v[113:114], v[50:51], s[20:21], -v[113:114]
	v_add_f64 v[109:110], v[109:110], v[12:13]
	v_fma_f64 v[129:130], v[54:55], s[22:23], v[121:122]
	v_add_f64 v[12:13], v[111:112], v[105:106]
	v_mul_f64 v[111:112], v[86:87], s[6:7]
	v_add_f64 v[105:106], v[115:116], v[101:102]
	v_fma_f64 v[115:116], v[56:57], s[20:21], v[127:128]
	v_add_f64 v[101:102], v[107:108], v[103:104]
	v_mul_f64 v[107:108], v[78:79], s[8:9]
	v_add_f64 v[99:100], v[113:114], v[99:100]
	v_add_f64 v[103:104], v[129:130], v[109:110]
	v_fma_f64 v[109:110], v[70:71], s[28:29], v[117:118]
	v_fma_f64 v[113:114], v[40:41], s[18:19], v[111:112]
	v_mul_f64 v[117:118], v[64:65], s[14:15]
	v_add_f64 v[105:106], v[115:116], v[105:106]
	v_fma_f64 v[115:116], v[66:67], s[26:27], -v[119:120]
	v_fma_f64 v[119:120], v[52:53], s[6:7], v[107:108]
	v_mul_f64 v[129:130], v[62:63], s[16:17]
	v_fma_f64 v[123:124], v[58:59], s[4:5], v[123:124]
	v_add_f64 v[109:110], v[2:3], v[109:110]
	v_add_f64 v[103:104], v[113:114], v[103:104]
	v_fma_f64 v[113:114], v[36:37], s[24:25], v[117:118]
	v_fma_f64 v[125:126], v[60:61], s[0:1], -v[125:126]
	v_add_f64 v[115:116], v[0:1], v[115:116]
	v_mul_f64 v[131:132], v[96:97], s[20:21]
	v_add_f64 v[119:120], v[119:120], v[105:106]
	v_fma_f64 v[133:134], v[50:51], s[14:15], v[129:130]
	v_add_f64 v[109:110], v[123:124], v[109:110]
	v_fma_f64 v[121:122], v[54:55], s[34:35], v[121:122]
	v_add_f64 v[105:106], v[113:114], v[103:104]
	v_mul_f64 v[113:114], v[92:93], s[22:23]
	v_add_f64 v[115:116], v[125:126], v[115:116]
	v_fma_f64 v[123:124], v[56:57], s[20:21], -v[127:128]
	v_fma_f64 v[125:126], v[70:71], s[34:35], v[131:132]
	v_mul_f64 v[127:128], v[94:95], s[14:15]
	v_add_f64 v[103:104], v[133:134], v[119:120]
	v_add_f64 v[109:110], v[121:122], v[109:110]
	v_fma_f64 v[111:112], v[40:41], s[8:9], v[111:112]
	v_fma_f64 v[119:120], v[66:67], s[20:21], v[113:114]
	v_mul_f64 v[121:122], v[88:89], s[16:17]
	v_add_f64 v[115:116], v[123:124], v[115:116]
	v_add_f64 v[123:124], v[2:3], v[125:126]
	v_fma_f64 v[125:126], v[58:59], s[24:25], v[127:128]
	v_mul_f64 v[133:134], v[90:91], s[0:1]
	v_fma_f64 v[107:108], v[52:53], s[6:7], -v[107:108]
	v_add_f64 v[109:110], v[111:112], v[109:110]
	v_add_f64 v[111:112], v[0:1], v[119:120]
	v_fma_f64 v[119:120], v[60:61], s[14:15], v[121:122]
	v_mul_f64 v[135:136], v[82:83], s[4:5]
	v_fma_f64 v[117:118], v[36:37], s[16:17], v[117:118]
	v_add_f64 v[123:124], v[125:126], v[123:124]
	v_fma_f64 v[125:126], v[54:55], s[10:11], v[133:134]
	v_add_f64 v[107:108], v[107:108], v[115:116]
	v_mul_f64 v[115:116], v[86:87], s[26:27]
	v_add_f64 v[80:81], v[0:1], v[80:81]
	v_add_f64 v[84:85], v[2:3], v[84:85]
	v_fma_f64 v[129:130], v[50:51], s[14:15], -v[129:130]
	v_add_f64 v[111:112], v[119:120], v[111:112]
	v_fma_f64 v[119:120], v[56:57], s[0:1], v[135:136]
	v_add_f64 v[109:110], v[117:118], v[109:110]
	v_mul_f64 v[117:118], v[78:79], s[30:31]
	v_add_f64 v[123:124], v[125:126], v[123:124]
	v_fma_f64 v[125:126], v[70:71], s[22:23], v[131:132]
	v_fma_f64 v[131:132], v[40:41], s[28:29], v[115:116]
	v_mul_f64 v[137:138], v[64:65], s[6:7]
	v_add_f64 v[74:75], v[74:75], v[80:81]
	v_add_f64 v[76:77], v[76:77], v[84:85]
	;; [unrolled: 1-line block ×4, first 2 shown]
	v_fma_f64 v[113:114], v[66:67], s[20:21], -v[113:114]
	v_fma_f64 v[119:120], v[52:53], s[26:27], v[117:118]
	v_fma_f64 v[127:128], v[58:59], s[16:17], v[127:128]
	v_add_f64 v[125:126], v[2:3], v[125:126]
	v_add_f64 v[123:124], v[131:132], v[123:124]
	v_fma_f64 v[129:130], v[36:37], s[8:9], v[137:138]
	v_mul_f64 v[131:132], v[96:97], s[6:7]
	v_add_f64 v[68:69], v[68:69], v[74:75]
	v_add_f64 v[72:73], v[72:73], v[76:77]
	v_fma_f64 v[121:122], v[60:61], s[14:15], -v[121:122]
	v_add_f64 v[113:114], v[0:1], v[113:114]
	v_add_f64 v[111:112], v[119:120], v[111:112]
	v_mul_f64 v[119:120], v[62:63], s[18:19]
	v_add_f64 v[125:126], v[127:128], v[125:126]
	v_fma_f64 v[127:128], v[54:55], s[4:5], v[133:134]
	v_add_f64 v[96:97], v[129:130], v[123:124]
	v_fma_f64 v[123:124], v[70:71], s[18:19], v[131:132]
	v_mul_f64 v[129:130], v[94:95], s[20:21]
	v_mul_f64 v[92:93], v[92:93], s[8:9]
	v_add_f64 v[68:69], v[46:47], v[68:69]
	v_add_f64 v[72:73], v[48:49], v[72:73]
	v_fma_f64 v[70:71], v[70:71], s[8:9], v[131:132]
	v_add_f64 v[94:95], v[121:122], v[113:114]
	v_fma_f64 v[113:114], v[56:57], s[0:1], -v[135:136]
	v_fma_f64 v[121:122], v[50:51], s[6:7], v[119:120]
	v_add_f64 v[125:126], v[127:128], v[125:126]
	v_add_f64 v[123:124], v[2:3], v[123:124]
	v_fma_f64 v[127:128], v[58:59], s[34:35], v[129:130]
	v_mul_f64 v[90:91], v[90:91], s[26:27]
	v_fma_f64 v[133:134], v[66:67], s[6:7], v[92:93]
	v_mul_f64 v[88:89], v[88:89], s[22:23]
	v_fma_f64 v[66:67], v[66:67], s[6:7], -v[92:93]
	v_add_f64 v[38:39], v[38:39], v[68:69]
	v_add_f64 v[42:43], v[42:43], v[72:73]
	;; [unrolled: 1-line block ×3, first 2 shown]
	v_fma_f64 v[58:59], v[58:59], s[22:23], v[129:130]
	v_fma_f64 v[115:116], v[40:41], s[30:31], v[115:116]
	v_add_f64 v[113:114], v[113:114], v[94:95]
	v_add_f64 v[123:124], v[127:128], v[123:124]
	v_fma_f64 v[127:128], v[54:55], s[30:31], v[90:91]
	v_add_f64 v[94:95], v[121:122], v[111:112]
	v_add_f64 v[84:85], v[0:1], v[133:134]
	v_fma_f64 v[111:112], v[60:61], s[20:21], v[88:89]
	v_mul_f64 v[86:87], v[86:87], s[14:15]
	v_mul_f64 v[76:77], v[82:83], s[28:29]
	v_add_f64 v[0:1], v[0:1], v[66:67]
	v_fma_f64 v[60:61], v[60:61], s[20:21], -v[88:89]
	v_add_f64 v[30:31], v[30:31], v[38:39]
	v_add_f64 v[34:35], v[34:35], v[42:43]
	v_fma_f64 v[38:39], v[54:55], s[28:29], v[90:91]
	v_add_f64 v[2:3], v[58:59], v[2:3]
	v_fma_f64 v[117:118], v[52:53], s[26:27], -v[117:118]
	v_add_f64 v[80:81], v[115:116], v[125:126]
	v_add_f64 v[115:116], v[127:128], v[123:124]
	v_add_f64 v[82:83], v[111:112], v[84:85]
	v_fma_f64 v[74:75], v[36:37], s[18:19], v[137:138]
	v_fma_f64 v[111:112], v[40:41], s[24:25], v[86:87]
	v_mul_f64 v[78:79], v[78:79], s[16:17]
	v_mul_f64 v[42:43], v[64:65], s[0:1]
	v_fma_f64 v[54:55], v[56:57], s[26:27], -v[76:77]
	v_add_f64 v[0:1], v[60:61], v[0:1]
	v_add_f64 v[24:25], v[24:25], v[30:31]
	;; [unrolled: 1-line block ×3, first 2 shown]
	v_fma_f64 v[30:31], v[40:41], s[16:17], v[86:87]
	v_add_f64 v[38:39], v[38:39], v[2:3]
	v_add_f64 v[113:114], v[117:118], v[113:114]
	v_fma_f64 v[117:118], v[56:57], s[26:27], v[76:77]
	v_add_f64 v[48:49], v[74:75], v[80:81]
	v_add_f64 v[74:75], v[111:112], v[115:116]
	v_fma_f64 v[34:35], v[36:37], s[4:5], v[42:43]
	v_mul_f64 v[56:57], v[62:63], s[10:11]
	v_fma_f64 v[40:41], v[52:53], s[14:15], -v[78:79]
	v_add_f64 v[0:1], v[54:55], v[0:1]
	v_add_f64 v[24:25], v[28:29], v[24:25]
	;; [unrolled: 1-line block ×3, first 2 shown]
	v_fma_f64 v[28:29], v[36:37], s[10:11], v[42:43]
	v_add_f64 v[30:31], v[30:31], v[38:39]
	v_add_f64 v[72:73], v[117:118], v[82:83]
	v_fma_f64 v[80:81], v[52:53], s[14:15], v[78:79]
	v_add_f64 v[2:3], v[34:35], v[74:75]
	v_fma_f64 v[34:35], v[50:51], s[0:1], -v[56:57]
	v_add_f64 v[36:37], v[40:41], v[0:1]
	v_fma_f64 v[32:33], v[50:51], s[0:1], v[56:57]
	v_mad_u64_u32 v[38:39], s[0:1], s2, v98, 0
	v_add_f64 v[24:25], v[20:21], v[24:25]
	v_add_f64 v[26:27], v[22:23], v[26:27]
	v_mov_b32_e32 v20, v39
	v_add_f64 v[22:23], v[28:29], v[30:31]
	v_mad_u64_u32 v[28:29], s[0:1], s3, v98, v[20:21]
	v_add_f64 v[64:65], v[80:81], v[72:73]
	v_add_f64 v[20:21], v[34:35], v[36:37]
	v_mov_b32_e32 v39, v28
	v_add_u32_e32 v28, 24, v98
	v_add_f64 v[24:25], v[18:19], v[24:25]
	v_mad_u64_u32 v[18:19], s[0:1], s2, v28, 0
	v_add_f64 v[26:27], v[16:17], v[26:27]
	v_add_f64 v[0:1], v[32:33], v[64:65]
	v_mov_b32_e32 v16, s13
	v_add_co_u32_e32 v31, vcc, s12, v44
	v_mad_u64_u32 v[28:29], s[0:1], s3, v28, v[19:20]
	v_add_u32_e32 v33, 48, v98
	v_addc_co_u32_e32 v32, vcc, v16, v45, vcc
	v_lshlrev_b64 v[16:17], 4, v[38:39]
	v_mad_u64_u32 v[29:30], s[0:1], s2, v33, 0
	v_fma_f64 v[84:85], v[50:51], s[6:7], -v[119:120]
	v_add_co_u32_e32 v16, vcc, v31, v16
	v_addc_co_u32_e32 v17, vcc, v32, v17, vcc
	v_mov_b32_e32 v19, v28
	global_store_dwordx4 v[16:17], v[24:27], off
	v_lshlrev_b64 v[16:17], 4, v[18:19]
	v_mov_b32_e32 v18, v30
	v_mad_u64_u32 v[18:19], s[0:1], s3, v33, v[18:19]
	v_add_co_u32_e32 v16, vcc, v31, v16
	v_addc_co_u32_e32 v17, vcc, v32, v17, vcc
	global_store_dwordx4 v[16:17], v[20:23], off
	v_mov_b32_e32 v30, v18
	v_add_u32_e32 v20, 0x48, v98
	v_mad_u64_u32 v[18:19], s[0:1], s2, v20, 0
	v_add_f64 v[46:47], v[84:85], v[113:114]
	v_or_b32_e32 v22, 0x60, v98
	v_mad_u64_u32 v[19:20], s[0:1], s3, v20, v[19:20]
	v_lshlrev_b64 v[16:17], 4, v[29:30]
	v_mad_u64_u32 v[20:21], s[0:1], s2, v22, 0
	v_add_co_u32_e32 v16, vcc, v31, v16
	v_addc_co_u32_e32 v17, vcc, v32, v17, vcc
	global_store_dwordx4 v[16:17], v[46:49], off
	v_lshlrev_b64 v[16:17], 4, v[18:19]
	v_mov_b32_e32 v18, v21
	v_mad_u64_u32 v[18:19], s[0:1], s3, v22, v[18:19]
	v_add_co_u32_e32 v16, vcc, v31, v16
	v_addc_co_u32_e32 v17, vcc, v32, v17, vcc
	v_mov_b32_e32 v21, v18
	global_store_dwordx4 v[16:17], v[107:110], off
	v_lshlrev_b64 v[16:17], 4, v[20:21]
	v_add_u32_e32 v20, 0x78, v98
	v_mad_u64_u32 v[18:19], s[0:1], s2, v20, 0
	v_add_co_u32_e32 v16, vcc, v31, v16
	v_mad_u64_u32 v[19:20], s[0:1], s3, v20, v[19:20]
	v_addc_co_u32_e32 v17, vcc, v32, v17, vcc
	v_add_u32_e32 v22, 0x90, v98
	v_mad_u64_u32 v[20:21], s[0:1], s2, v22, 0
	global_store_dwordx4 v[16:17], v[99:102], off
	v_lshlrev_b64 v[16:17], 4, v[18:19]
	v_mov_b32_e32 v18, v21
	v_add_co_u32_e32 v16, vcc, v31, v16
	v_addc_co_u32_e32 v17, vcc, v32, v17, vcc
	global_store_dwordx4 v[16:17], v[8:11], off
	v_add_u32_e32 v16, 0xa8, v98
	v_mad_u64_u32 v[18:19], s[0:1], s3, v22, v[18:19]
	v_mad_u64_u32 v[10:11], s[0:1], s2, v16, 0
	v_mov_b32_e32 v21, v18
	v_or_b32_e32 v19, 0xc0, v98
	v_mad_u64_u32 v[16:17], s[0:1], s3, v16, v[11:12]
	v_lshlrev_b64 v[8:9], 4, v[20:21]
	v_mad_u64_u32 v[17:18], s[0:1], s2, v19, 0
	v_add_co_u32_e32 v8, vcc, v31, v8
	v_addc_co_u32_e32 v9, vcc, v32, v9, vcc
	global_store_dwordx4 v[8:9], v[4:7], off
	v_add_u32_e32 v8, 0xd8, v98
	v_mov_b32_e32 v6, v18
	v_mad_u64_u32 v[6:7], s[0:1], s3, v19, v[6:7]
	v_mov_b32_e32 v11, v16
	v_lshlrev_b64 v[4:5], 4, v[10:11]
	v_mov_b32_e32 v18, v6
	v_mad_u64_u32 v[6:7], s[0:1], s2, v8, 0
	v_add_co_u32_e32 v4, vcc, v31, v4
	v_addc_co_u32_e32 v5, vcc, v32, v5, vcc
	v_mad_u64_u32 v[7:8], s[0:1], s3, v8, v[7:8]
	v_add_u32_e32 v10, 0xf0, v98
	global_store_dwordx4 v[4:5], v[12:15], off
	v_lshlrev_b64 v[4:5], 4, v[17:18]
	v_mad_u64_u32 v[8:9], s[0:1], s2, v10, 0
	v_add_co_u32_e32 v4, vcc, v31, v4
	v_addc_co_u32_e32 v5, vcc, v32, v5, vcc
	global_store_dwordx4 v[4:5], v[103:106], off
	v_lshlrev_b64 v[4:5], 4, v[6:7]
	v_mov_b32_e32 v6, v9
	v_mad_u64_u32 v[6:7], s[0:1], s3, v10, v[6:7]
	v_add_co_u32_e32 v4, vcc, v31, v4
	v_addc_co_u32_e32 v5, vcc, v32, v5, vcc
	v_mov_b32_e32 v9, v6
	global_store_dwordx4 v[4:5], v[94:97], off
	v_lshlrev_b64 v[4:5], 4, v[8:9]
	v_add_co_u32_e32 v4, vcc, v31, v4
	v_addc_co_u32_e32 v5, vcc, v32, v5, vcc
	global_store_dwordx4 v[4:5], v[0:3], off
	s_endpgm
	.section	.rodata,"a",@progbits
	.p2align	6, 0x0
	.amdhsa_kernel fft_rtc_fwd_len264_factors_8_3_11_wgs_231_tpt_33_dp_ip_CI_sbrr_dirReg
		.amdhsa_group_segment_fixed_size 0
		.amdhsa_private_segment_fixed_size 0
		.amdhsa_kernarg_size 88
		.amdhsa_user_sgpr_count 6
		.amdhsa_user_sgpr_private_segment_buffer 1
		.amdhsa_user_sgpr_dispatch_ptr 0
		.amdhsa_user_sgpr_queue_ptr 0
		.amdhsa_user_sgpr_kernarg_segment_ptr 1
		.amdhsa_user_sgpr_dispatch_id 0
		.amdhsa_user_sgpr_flat_scratch_init 0
		.amdhsa_user_sgpr_private_segment_size 0
		.amdhsa_uses_dynamic_stack 0
		.amdhsa_system_sgpr_private_segment_wavefront_offset 0
		.amdhsa_system_sgpr_workgroup_id_x 1
		.amdhsa_system_sgpr_workgroup_id_y 0
		.amdhsa_system_sgpr_workgroup_id_z 0
		.amdhsa_system_sgpr_workgroup_info 0
		.amdhsa_system_vgpr_workitem_id 0
		.amdhsa_next_free_vgpr 139
		.amdhsa_next_free_sgpr 36
		.amdhsa_reserve_vcc 1
		.amdhsa_reserve_flat_scratch 0
		.amdhsa_float_round_mode_32 0
		.amdhsa_float_round_mode_16_64 0
		.amdhsa_float_denorm_mode_32 3
		.amdhsa_float_denorm_mode_16_64 3
		.amdhsa_dx10_clamp 1
		.amdhsa_ieee_mode 1
		.amdhsa_fp16_overflow 0
		.amdhsa_exception_fp_ieee_invalid_op 0
		.amdhsa_exception_fp_denorm_src 0
		.amdhsa_exception_fp_ieee_div_zero 0
		.amdhsa_exception_fp_ieee_overflow 0
		.amdhsa_exception_fp_ieee_underflow 0
		.amdhsa_exception_fp_ieee_inexact 0
		.amdhsa_exception_int_div_zero 0
	.end_amdhsa_kernel
	.text
.Lfunc_end0:
	.size	fft_rtc_fwd_len264_factors_8_3_11_wgs_231_tpt_33_dp_ip_CI_sbrr_dirReg, .Lfunc_end0-fft_rtc_fwd_len264_factors_8_3_11_wgs_231_tpt_33_dp_ip_CI_sbrr_dirReg
                                        ; -- End function
	.section	.AMDGPU.csdata,"",@progbits
; Kernel info:
; codeLenInByte = 6920
; NumSgprs: 40
; NumVgprs: 139
; ScratchSize: 0
; MemoryBound: 1
; FloatMode: 240
; IeeeMode: 1
; LDSByteSize: 0 bytes/workgroup (compile time only)
; SGPRBlocks: 4
; VGPRBlocks: 34
; NumSGPRsForWavesPerEU: 40
; NumVGPRsForWavesPerEU: 139
; Occupancy: 1
; WaveLimiterHint : 1
; COMPUTE_PGM_RSRC2:SCRATCH_EN: 0
; COMPUTE_PGM_RSRC2:USER_SGPR: 6
; COMPUTE_PGM_RSRC2:TRAP_HANDLER: 0
; COMPUTE_PGM_RSRC2:TGID_X_EN: 1
; COMPUTE_PGM_RSRC2:TGID_Y_EN: 0
; COMPUTE_PGM_RSRC2:TGID_Z_EN: 0
; COMPUTE_PGM_RSRC2:TIDIG_COMP_CNT: 0
	.type	__hip_cuid_bfd0e15ff4f6b60,@object ; @__hip_cuid_bfd0e15ff4f6b60
	.section	.bss,"aw",@nobits
	.globl	__hip_cuid_bfd0e15ff4f6b60
__hip_cuid_bfd0e15ff4f6b60:
	.byte	0                               ; 0x0
	.size	__hip_cuid_bfd0e15ff4f6b60, 1

	.ident	"AMD clang version 19.0.0git (https://github.com/RadeonOpenCompute/llvm-project roc-6.4.0 25133 c7fe45cf4b819c5991fe208aaa96edf142730f1d)"
	.section	".note.GNU-stack","",@progbits
	.addrsig
	.addrsig_sym __hip_cuid_bfd0e15ff4f6b60
	.amdgpu_metadata
---
amdhsa.kernels:
  - .args:
      - .actual_access:  read_only
        .address_space:  global
        .offset:         0
        .size:           8
        .value_kind:     global_buffer
      - .offset:         8
        .size:           8
        .value_kind:     by_value
      - .actual_access:  read_only
        .address_space:  global
        .offset:         16
        .size:           8
        .value_kind:     global_buffer
      - .actual_access:  read_only
        .address_space:  global
        .offset:         24
        .size:           8
        .value_kind:     global_buffer
      - .offset:         32
        .size:           8
        .value_kind:     by_value
      - .actual_access:  read_only
        .address_space:  global
        .offset:         40
        .size:           8
        .value_kind:     global_buffer
      - .actual_access:  read_only
        .address_space:  global
        .offset:         48
        .size:           8
        .value_kind:     global_buffer
      - .offset:         56
        .size:           4
        .value_kind:     by_value
      - .actual_access:  read_only
        .address_space:  global
        .offset:         64
        .size:           8
        .value_kind:     global_buffer
      - .actual_access:  read_only
        .address_space:  global
        .offset:         72
        .size:           8
        .value_kind:     global_buffer
      - .address_space:  global
        .offset:         80
        .size:           8
        .value_kind:     global_buffer
    .group_segment_fixed_size: 0
    .kernarg_segment_align: 8
    .kernarg_segment_size: 88
    .language:       OpenCL C
    .language_version:
      - 2
      - 0
    .max_flat_workgroup_size: 231
    .name:           fft_rtc_fwd_len264_factors_8_3_11_wgs_231_tpt_33_dp_ip_CI_sbrr_dirReg
    .private_segment_fixed_size: 0
    .sgpr_count:     40
    .sgpr_spill_count: 0
    .symbol:         fft_rtc_fwd_len264_factors_8_3_11_wgs_231_tpt_33_dp_ip_CI_sbrr_dirReg.kd
    .uniform_work_group_size: 1
    .uses_dynamic_stack: false
    .vgpr_count:     139
    .vgpr_spill_count: 0
    .wavefront_size: 64
amdhsa.target:   amdgcn-amd-amdhsa--gfx906
amdhsa.version:
  - 1
  - 2
...

	.end_amdgpu_metadata
